;; amdgpu-corpus repo=ROCm/rocFFT kind=compiled arch=gfx906 opt=O3
	.text
	.amdgcn_target "amdgcn-amd-amdhsa--gfx906"
	.amdhsa_code_object_version 6
	.protected	bluestein_single_back_len8_dim1_half_op_CI_CI ; -- Begin function bluestein_single_back_len8_dim1_half_op_CI_CI
	.globl	bluestein_single_back_len8_dim1_half_op_CI_CI
	.p2align	8
	.type	bluestein_single_back_len8_dim1_half_op_CI_CI,@function
bluestein_single_back_len8_dim1_half_op_CI_CI: ; @bluestein_single_back_len8_dim1_half_op_CI_CI
; %bb.0:
	s_load_dwordx4 s[0:3], s[4:5], 0x28
	v_lshrrev_b32_e32 v1, 2, v0
	v_lshl_or_b32 v4, s6, 4, v1
	v_mov_b32_e32 v5, 0
	s_waitcnt lgkmcnt(0)
	v_cmp_gt_u64_e32 vcc, s[0:1], v[4:5]
	s_and_saveexec_b64 s[0:1], vcc
	s_cbranch_execz .LBB0_15
; %bb.1:
	s_load_dwordx2 s[12:13], s[4:5], 0x0
	s_load_dwordx2 s[6:7], s[4:5], 0x38
	v_and_b32_e32 v7, 3, v0
	v_lshlrev_b32_e32 v12, 3, v1
	v_cmp_gt_u32_e32 vcc, 2, v7
	v_lshlrev_b32_e32 v11, 2, v7
	v_or_b32_e32 v5, v12, v7
	v_or_b32_e32 v8, 2, v7
	v_add_lshl_u32 v10, v12, v7, 2
	v_or_b32_e32 v9, 6, v7
	s_and_saveexec_b64 s[14:15], vcc
	s_cbranch_execz .LBB0_3
; %bb.2:
	s_load_dwordx2 s[0:1], s[4:5], 0x18
	v_mov_b32_e32 v6, s3
	s_waitcnt lgkmcnt(0)
	s_load_dwordx4 s[8:11], s[0:1], 0x0
	s_waitcnt lgkmcnt(0)
	v_mad_u64_u32 v[0:1], s[0:1], s10, v4, 0
	v_mad_u64_u32 v[2:3], s[0:1], s8, v7, 0
	;; [unrolled: 1-line block ×5, first 2 shown]
	v_mov_b32_e32 v1, v13
	v_lshlrev_b64 v[0:1], 2, v[0:1]
	v_mov_b32_e32 v3, v14
	v_add_co_u32_e64 v21, s[0:1], s2, v0
	v_mov_b32_e32 v0, v16
	v_addc_co_u32_e64 v6, s[0:1], v6, v1, s[0:1]
	v_mad_u64_u32 v[0:1], s[0:1], s9, v8, v[0:1]
	v_lshlrev_b64 v[2:3], 2, v[2:3]
	v_mov_b32_e32 v16, v0
	v_add_co_u32_e64 v1, s[0:1], v21, v2
	v_lshlrev_b64 v[13:14], 2, v[15:16]
	v_addc_co_u32_e64 v2, s[0:1], v6, v3, s[0:1]
	v_add_co_u32_e64 v13, s[0:1], v21, v13
	v_mad_u64_u32 v[15:16], s[2:3], s8, v9, 0
	v_addc_co_u32_e64 v14, s[0:1], v6, v14, s[0:1]
	s_lshl_b64 s[0:1], s[8:9], 4
	v_mov_b32_e32 v0, s1
	v_add_co_u32_e64 v17, s[0:1], s0, v1
	v_addc_co_u32_e64 v18, s[0:1], v2, v0, s[0:1]
	v_mov_b32_e32 v0, v16
	v_mad_u64_u32 v[19:20], s[0:1], s9, v9, v[0:1]
	global_load_dword v3, v[1:2], off
	global_load_dword v20, v[13:14], off
	;; [unrolled: 1-line block ×3, first 2 shown]
	global_load_dword v23, v11, s[12:13]
	global_load_dword v24, v11, s[12:13] offset:8
	global_load_dword v25, v11, s[12:13] offset:16
	v_mov_b32_e32 v16, v19
	v_lshlrev_b64 v[0:1], 2, v[15:16]
	v_add_co_u32_e64 v0, s[0:1], v21, v0
	v_addc_co_u32_e64 v1, s[0:1], v6, v1, s[0:1]
	global_load_dword v2, v[0:1], off
	global_load_dword v6, v11, s[12:13] offset:24
	v_lshlrev_b32_e32 v0, 2, v5
	s_waitcnt vmcnt(7)
	v_lshrrev_b32_e32 v1, 16, v3
	s_waitcnt vmcnt(6)
	v_lshrrev_b32_e32 v14, 16, v20
	s_waitcnt vmcnt(4)
	v_mul_f16_sdwa v13, v23, v3 dst_sel:DWORD dst_unused:UNUSED_PAD src0_sel:WORD_1 src1_sel:DWORD
	s_waitcnt vmcnt(3)
	v_mul_f16_sdwa v15, v24, v20 dst_sel:DWORD dst_unused:UNUSED_PAD src0_sel:WORD_1 src1_sel:DWORD
	v_fma_f16 v13, v23, v1, -v13
	v_mul_f16_sdwa v1, v23, v1 dst_sel:DWORD dst_unused:UNUSED_PAD src0_sel:WORD_1 src1_sel:DWORD
	v_mul_f16_sdwa v16, v24, v14 dst_sel:DWORD dst_unused:UNUSED_PAD src0_sel:WORD_1 src1_sel:DWORD
	v_fma_f16 v14, v24, v14, -v15
	v_lshrrev_b32_e32 v15, 16, v22
	s_waitcnt vmcnt(2)
	v_mul_f16_sdwa v17, v25, v22 dst_sel:DWORD dst_unused:UNUSED_PAD src0_sel:WORD_1 src1_sel:DWORD
	v_fma_f16 v1, v23, v3, v1
	v_fma_f16 v3, v24, v20, v16
	s_waitcnt vmcnt(1)
	v_lshrrev_b32_e32 v18, 16, v2
	s_waitcnt vmcnt(0)
	v_mul_f16_sdwa v19, v6, v2 dst_sel:DWORD dst_unused:UNUSED_PAD src0_sel:WORD_1 src1_sel:DWORD
	v_fma_f16 v16, v25, v15, -v17
	v_mul_f16_sdwa v15, v25, v15 dst_sel:DWORD dst_unused:UNUSED_PAD src0_sel:WORD_1 src1_sel:DWORD
	v_fma_f16 v17, v6, v18, -v19
	v_mul_f16_sdwa v18, v6, v18 dst_sel:DWORD dst_unused:UNUSED_PAD src0_sel:WORD_1 src1_sel:DWORD
	v_pack_b32_f16 v1, v1, v13
	v_fma_f16 v13, v25, v22, v15
	v_pack_b32_f16 v3, v3, v14
	v_fma_f16 v2, v6, v2, v18
	ds_write_b32 v0, v1
	v_pack_b32_f16 v0, v13, v16
	v_pack_b32_f16 v1, v2, v17
	ds_write2_b32 v10, v3, v0 offset0:2 offset1:4
	ds_write_b32 v10, v1 offset:24
.LBB0_3:
	s_or_b64 exec, exec, s[14:15]
	s_load_dwordx2 s[0:1], s[4:5], 0x20
	s_load_dwordx2 s[8:9], s[4:5], 0x8
	s_waitcnt lgkmcnt(0)
	; wave barrier
	s_waitcnt lgkmcnt(0)
                                        ; implicit-def: $vgpr0
                                        ; implicit-def: $vgpr2
	s_and_saveexec_b64 s[2:3], vcc
	s_cbranch_execz .LBB0_5
; %bb.4:
	v_lshlrev_b32_e32 v2, 2, v5
	ds_read2_b32 v[0:1], v2 offset1:2
	ds_read2_b32 v[2:3], v2 offset0:4 offset1:6
.LBB0_5:
	s_or_b64 exec, exec, s[2:3]
	s_waitcnt lgkmcnt(0)
	v_pk_add_f16 v13, v0, v2 neg_lo:[0,1] neg_hi:[0,1]
	v_pk_add_f16 v3, v1, v3 neg_lo:[0,1] neg_hi:[0,1]
	v_pk_fma_f16 v0, v0, 2.0, v13 op_sel_hi:[1,0,1] neg_lo:[0,0,1] neg_hi:[0,0,1]
	v_pk_fma_f16 v1, v1, 2.0, v3 op_sel_hi:[1,0,1] neg_lo:[0,0,1] neg_hi:[0,0,1]
	v_pk_add_f16 v2, v0, v1 neg_lo:[0,1] neg_hi:[0,1]
	v_pk_add_f16 v6, v13, v3 op_sel:[0,1] op_sel_hi:[1,0] neg_lo:[0,1] neg_hi:[0,1]
	v_pk_add_f16 v16, v13, v3 op_sel:[0,1] op_sel_hi:[1,0]
	v_lshlrev_b32_e32 v12, 2, v12
	s_waitcnt lgkmcnt(0)
	; wave barrier
	s_and_saveexec_b64 s[2:3], vcc
	s_cbranch_execz .LBB0_7
; %bb.6:
	s_mov_b32 s4, 0xffff
	v_bfi_b32 v3, s4, v6, v16
	v_lshl_or_b32 v14, v7, 4, v12
	v_pk_fma_f16 v0, v0, 2.0, v2 op_sel_hi:[1,0,1] neg_lo:[0,0,1] neg_hi:[0,0,1]
	v_pk_fma_f16 v1, v13, 2.0, v3 op_sel_hi:[1,0,1] neg_lo:[0,0,1] neg_hi:[0,0,1]
	ds_write_b128 v14, v[0:3]
.LBB0_7:
	s_or_b64 exec, exec, s[2:3]
	s_load_dwordx4 s[0:3], s[0:1], 0x0
	s_waitcnt lgkmcnt(0)
	; wave barrier
	s_waitcnt lgkmcnt(0)
	global_load_dword v13, v11, s[8:9]
	v_lshlrev_b32_e32 v3, 2, v5
	ds_read2_b32 v[0:1], v3 offset1:4
	s_waitcnt lgkmcnt(0)
	v_lshrrev_b32_e32 v14, 16, v1
	v_lshrrev_b32_e32 v5, 16, v0
	s_waitcnt vmcnt(0)
	v_mul_f16_sdwa v15, v14, v13 dst_sel:DWORD dst_unused:UNUSED_PAD src0_sel:DWORD src1_sel:WORD_1
	v_mul_f16_sdwa v17, v1, v13 dst_sel:DWORD dst_unused:UNUSED_PAD src0_sel:DWORD src1_sel:WORD_1
	v_fma_f16 v1, v1, v13, -v15
	v_fma_f16 v14, v14, v13, v17
	v_sub_f16_e32 v1, v0, v1
	v_sub_f16_e32 v14, v5, v14
	v_fma_f16 v0, v0, 2.0, -v1
	v_fma_f16 v15, v5, 2.0, -v14
	v_pack_b32_f16 v5, v1, v14
	v_pack_b32_f16 v17, v0, v15
	ds_write2_b32 v3, v17, v5 offset1:4
	s_waitcnt lgkmcnt(0)
	; wave barrier
	s_waitcnt lgkmcnt(0)
	s_and_saveexec_b64 s[4:5], vcc
	s_cbranch_execz .LBB0_9
; %bb.8:
	global_load_dword v5, v11, s[12:13] offset:32
	s_add_u32 s8, s12, 32
	s_addc_u32 s9, s13, 0
	global_load_dword v19, v11, s[8:9] offset:8
	global_load_dword v20, v11, s[8:9] offset:16
	;; [unrolled: 1-line block ×3, first 2 shown]
	ds_read_b32 v17, v3
	s_waitcnt lgkmcnt(0)
	v_lshrrev_b32_e32 v18, 16, v17
	s_waitcnt vmcnt(3)
	v_mul_f16_sdwa v22, v18, v5 dst_sel:DWORD dst_unused:UNUSED_PAD src0_sel:DWORD src1_sel:WORD_1
	v_mul_f16_sdwa v23, v17, v5 dst_sel:DWORD dst_unused:UNUSED_PAD src0_sel:DWORD src1_sel:WORD_1
	v_fma_f16 v17, v17, v5, -v22
	v_fma_f16 v5, v18, v5, v23
	v_pack_b32_f16 v5, v17, v5
	ds_write_b32 v3, v5
	ds_read2_b32 v[17:18], v10 offset0:2 offset1:4
	ds_read_b32 v5, v10 offset:24
	s_waitcnt lgkmcnt(1)
	v_lshrrev_b32_e32 v22, 16, v17
	s_waitcnt vmcnt(2)
	v_mul_f16_sdwa v23, v17, v19 dst_sel:DWORD dst_unused:UNUSED_PAD src0_sel:DWORD src1_sel:WORD_1
	v_lshrrev_b32_e32 v24, 16, v18
	s_waitcnt vmcnt(1)
	v_mul_f16_sdwa v25, v18, v20 dst_sel:DWORD dst_unused:UNUSED_PAD src0_sel:DWORD src1_sel:WORD_1
	s_waitcnt lgkmcnt(0)
	v_lshrrev_b32_e32 v26, 16, v5
	v_mul_f16_sdwa v28, v22, v19 dst_sel:DWORD dst_unused:UNUSED_PAD src0_sel:DWORD src1_sel:WORD_1
	v_fma_f16 v22, v22, v19, v23
	v_mul_f16_sdwa v23, v24, v20 dst_sel:DWORD dst_unused:UNUSED_PAD src0_sel:DWORD src1_sel:WORD_1
	s_waitcnt vmcnt(0)
	v_mul_f16_sdwa v27, v5, v21 dst_sel:DWORD dst_unused:UNUSED_PAD src0_sel:DWORD src1_sel:WORD_1
	v_fma_f16 v24, v24, v20, v25
	v_mul_f16_sdwa v25, v26, v21 dst_sel:DWORD dst_unused:UNUSED_PAD src0_sel:DWORD src1_sel:WORD_1
	v_fma_f16 v17, v17, v19, -v28
	v_fma_f16 v18, v18, v20, -v23
	v_fma_f16 v26, v26, v21, v27
	v_fma_f16 v5, v5, v21, -v25
	v_pack_b32_f16 v17, v17, v22
	v_pack_b32_f16 v18, v18, v24
	;; [unrolled: 1-line block ×3, first 2 shown]
	ds_write2_b32 v10, v17, v18 offset0:2 offset1:4
	ds_write_b32 v10, v5 offset:24
.LBB0_9:
	s_or_b64 exec, exec, s[4:5]
	v_lshrrev_b32_e32 v16, 16, v16
	s_waitcnt lgkmcnt(0)
	; wave barrier
	s_waitcnt lgkmcnt(0)
	s_and_saveexec_b64 s[4:5], vcc
	s_cbranch_execz .LBB0_11
; %bb.10:
	ds_read2_b32 v[0:1], v3 offset1:2
	ds_read2_b32 v[5:6], v3 offset0:4 offset1:6
	s_waitcnt lgkmcnt(1)
	v_lshrrev_b32_e32 v15, 16, v0
	v_lshrrev_b32_e32 v14, 16, v1
	s_waitcnt lgkmcnt(0)
	v_lshrrev_b32_e32 v16, 16, v6
	v_mov_b32_e32 v2, v5
.LBB0_11:
	s_or_b64 exec, exec, s[4:5]
	s_waitcnt lgkmcnt(0)
	; wave barrier
	s_and_saveexec_b64 s[4:5], vcc
	s_cbranch_execz .LBB0_13
; %bb.12:
	v_sub_f16_e32 v5, v0, v2
	v_sub_f16_e32 v16, v14, v16
	v_sub_f16_sdwa v2, v15, v2 dst_sel:DWORD dst_unused:UNUSED_PAD src0_sel:DWORD src1_sel:WORD_1
	v_sub_f16_e32 v6, v1, v6
	v_add_f16_e32 v17, v16, v5
	v_sub_f16_e32 v19, v2, v6
	v_fma_f16 v18, v5, 2.0, -v17
	v_fma_f16 v20, v2, 2.0, -v19
	;; [unrolled: 1-line block ×6, first 2 shown]
	v_sub_f16_e32 v1, v0, v1
	v_sub_f16_e32 v5, v2, v5
	v_fma_f16 v0, v0, 2.0, -v1
	v_fma_f16 v2, v2, 2.0, -v5
	v_lshl_or_b32 v6, v7, 4, v12
	v_pack_b32_f16 v17, v17, v19
	v_pack_b32_f16 v16, v1, v5
	v_pack_b32_f16 v15, v18, v20
	v_pack_b32_f16 v14, v0, v2
	ds_write_b128 v6, v[14:17]
.LBB0_13:
	s_or_b64 exec, exec, s[4:5]
	s_waitcnt lgkmcnt(0)
	; wave barrier
	s_waitcnt lgkmcnt(0)
	ds_read2_b32 v[0:1], v3 offset1:4
	s_waitcnt lgkmcnt(0)
	v_lshrrev_b32_e32 v5, 16, v1
	v_mul_f16_sdwa v6, v13, v1 dst_sel:DWORD dst_unused:UNUSED_PAD src0_sel:WORD_1 src1_sel:DWORD
	v_mul_f16_sdwa v12, v13, v5 dst_sel:DWORD dst_unused:UNUSED_PAD src0_sel:WORD_1 src1_sel:DWORD
	v_lshrrev_b32_e32 v2, 16, v0
	v_fma_f16 v1, v13, v1, v12
	v_fma_f16 v5, v13, v5, -v6
	v_sub_f16_e32 v1, v0, v1
	v_sub_f16_e32 v5, v2, v5
	v_fma_f16 v0, v0, 2.0, -v1
	v_fma_f16 v2, v2, 2.0, -v5
	v_pack_b32_f16 v0, v0, v2
	v_pack_b32_f16 v1, v1, v5
	ds_write2_b32 v3, v0, v1 offset1:4
	s_waitcnt lgkmcnt(0)
	; wave barrier
	s_waitcnt lgkmcnt(0)
	s_and_b64 exec, exec, vcc
	s_cbranch_execz .LBB0_15
; %bb.14:
	global_load_dword v16, v11, s[12:13]
	global_load_dword v17, v11, s[12:13] offset:8
	global_load_dword v18, v11, s[12:13] offset:16
	;; [unrolled: 1-line block ×3, first 2 shown]
	v_mad_u64_u32 v[0:1], s[4:5], s2, v4, 0
	ds_read_b32 v20, v3
	v_mad_u64_u32 v[2:3], s[4:5], s0, v7, 0
	ds_read2_b32 v[5:6], v10 offset0:2 offset1:4
	ds_read_b32 v22, v10 offset:24
	v_mad_u64_u32 v[10:11], s[4:5], s0, v8, 0
	v_mad_u64_u32 v[12:13], s[8:9], s0, v9, 0
	;; [unrolled: 1-line block ×3, first 2 shown]
	v_mov_b32_e32 v4, v11
	v_mov_b32_e32 v11, v13
	;; [unrolled: 1-line block ×3, first 2 shown]
	v_mad_u64_u32 v[13:14], s[2:3], s1, v7, v[3:4]
	s_waitcnt lgkmcnt(1)
	v_mad_u64_u32 v[7:8], s[2:3], s1, v8, v[4:5]
	v_lshlrev_b64 v[0:1], 2, v[0:1]
	v_mov_b32_e32 v3, v13
	v_mov_b32_e32 v21, s7
	s_lshl_b64 s[4:5], s[0:1], 4
	v_mad_u64_u32 v[8:9], s[0:1], s1, v9, v[11:12]
	v_mov_b32_e32 v11, v7
	v_lshlrev_b64 v[2:3], 2, v[2:3]
	v_add_co_u32_e32 v7, vcc, s6, v0
	v_lshlrev_b64 v[9:10], 2, v[10:11]
	v_addc_co_u32_e32 v11, vcc, v21, v1, vcc
	v_add_co_u32_e32 v0, vcc, v7, v2
	v_addc_co_u32_e32 v1, vcc, v11, v3, vcc
	v_add_co_u32_e32 v2, vcc, v7, v9
	v_addc_co_u32_e32 v3, vcc, v11, v10, vcc
	v_mov_b32_e32 v15, s5
	v_lshrrev_b32_e32 v23, 16, v20
	v_add_co_u32_e32 v9, vcc, s4, v0
	v_lshrrev_b32_e32 v14, 16, v5
	v_lshrrev_b32_e32 v4, 16, v6
	v_addc_co_u32_e32 v10, vcc, v1, v15, vcc
	s_movk_i32 s10, 0x3000
	s_waitcnt lgkmcnt(0)
	v_lshrrev_b32_e32 v24, 16, v22
	s_waitcnt vmcnt(3)
	v_mul_f16_sdwa v13, v23, v16 dst_sel:DWORD dst_unused:UNUSED_PAD src0_sel:DWORD src1_sel:WORD_1
	v_mul_f16_sdwa v15, v20, v16 dst_sel:DWORD dst_unused:UNUSED_PAD src0_sel:DWORD src1_sel:WORD_1
	s_waitcnt vmcnt(2)
	v_mul_f16_sdwa v21, v14, v17 dst_sel:DWORD dst_unused:UNUSED_PAD src0_sel:DWORD src1_sel:WORD_1
	v_mul_f16_sdwa v25, v5, v17 dst_sel:DWORD dst_unused:UNUSED_PAD src0_sel:DWORD src1_sel:WORD_1
	v_fma_f16 v13, v20, v16, v13
	s_waitcnt vmcnt(1)
	v_mul_f16_sdwa v20, v4, v18 dst_sel:DWORD dst_unused:UNUSED_PAD src0_sel:DWORD src1_sel:WORD_1
	v_fma_f16 v15, v16, v23, -v15
	v_mul_f16_sdwa v16, v6, v18 dst_sel:DWORD dst_unused:UNUSED_PAD src0_sel:DWORD src1_sel:WORD_1
	v_fma_f16 v14, v17, v14, -v25
	v_fma_f16 v5, v5, v17, v21
	v_fma_f16 v6, v6, v18, v20
	v_fma_f16 v4, v18, v4, -v16
	v_mul_f16_e32 v13, 0x3000, v13
	v_mul_f16_sdwa v15, v15, s10 dst_sel:WORD_1 dst_unused:UNUSED_PAD src0_sel:DWORD src1_sel:DWORD
	s_waitcnt vmcnt(0)
	v_mul_f16_sdwa v23, v24, v19 dst_sel:DWORD dst_unused:UNUSED_PAD src0_sel:DWORD src1_sel:WORD_1
	v_mul_f16_sdwa v25, v22, v19 dst_sel:DWORD dst_unused:UNUSED_PAD src0_sel:DWORD src1_sel:WORD_1
	v_mul_f16_e32 v5, 0x3000, v5
	v_mul_f16_sdwa v14, v14, s10 dst_sel:WORD_1 dst_unused:UNUSED_PAD src0_sel:DWORD src1_sel:DWORD
	v_mul_f16_e32 v6, 0x3000, v6
	v_mul_f16_sdwa v4, v4, s10 dst_sel:WORD_1 dst_unused:UNUSED_PAD src0_sel:DWORD src1_sel:DWORD
	v_or_b32_e32 v13, v15, v13
	v_fma_f16 v16, v22, v19, v23
	v_or_b32_e32 v5, v14, v5
	v_or_b32_e32 v4, v4, v6
	global_store_dword v[0:1], v13, off
	global_store_dword v[2:3], v5, off
	;; [unrolled: 1-line block ×3, first 2 shown]
	v_fma_f16 v0, v19, v24, -v25
	v_mul_f16_e32 v16, 0x3000, v16
	v_mul_f16_sdwa v0, v0, s10 dst_sel:WORD_1 dst_unused:UNUSED_PAD src0_sel:DWORD src1_sel:DWORD
	v_mov_b32_e32 v13, v8
	v_or_b32_e32 v2, v0, v16
	v_lshlrev_b64 v[0:1], 2, v[12:13]
	v_add_co_u32_e32 v0, vcc, v7, v0
	v_addc_co_u32_e32 v1, vcc, v11, v1, vcc
	global_store_dword v[0:1], v2, off
.LBB0_15:
	s_endpgm
	.section	.rodata,"a",@progbits
	.p2align	6, 0x0
	.amdhsa_kernel bluestein_single_back_len8_dim1_half_op_CI_CI
		.amdhsa_group_segment_fixed_size 512
		.amdhsa_private_segment_fixed_size 0
		.amdhsa_kernarg_size 104
		.amdhsa_user_sgpr_count 6
		.amdhsa_user_sgpr_private_segment_buffer 1
		.amdhsa_user_sgpr_dispatch_ptr 0
		.amdhsa_user_sgpr_queue_ptr 0
		.amdhsa_user_sgpr_kernarg_segment_ptr 1
		.amdhsa_user_sgpr_dispatch_id 0
		.amdhsa_user_sgpr_flat_scratch_init 0
		.amdhsa_user_sgpr_private_segment_size 0
		.amdhsa_uses_dynamic_stack 0
		.amdhsa_system_sgpr_private_segment_wavefront_offset 0
		.amdhsa_system_sgpr_workgroup_id_x 1
		.amdhsa_system_sgpr_workgroup_id_y 0
		.amdhsa_system_sgpr_workgroup_id_z 0
		.amdhsa_system_sgpr_workgroup_info 0
		.amdhsa_system_vgpr_workitem_id 0
		.amdhsa_next_free_vgpr 29
		.amdhsa_next_free_sgpr 16
		.amdhsa_reserve_vcc 1
		.amdhsa_reserve_flat_scratch 0
		.amdhsa_float_round_mode_32 0
		.amdhsa_float_round_mode_16_64 0
		.amdhsa_float_denorm_mode_32 3
		.amdhsa_float_denorm_mode_16_64 3
		.amdhsa_dx10_clamp 1
		.amdhsa_ieee_mode 1
		.amdhsa_fp16_overflow 0
		.amdhsa_exception_fp_ieee_invalid_op 0
		.amdhsa_exception_fp_denorm_src 0
		.amdhsa_exception_fp_ieee_div_zero 0
		.amdhsa_exception_fp_ieee_overflow 0
		.amdhsa_exception_fp_ieee_underflow 0
		.amdhsa_exception_fp_ieee_inexact 0
		.amdhsa_exception_int_div_zero 0
	.end_amdhsa_kernel
	.text
.Lfunc_end0:
	.size	bluestein_single_back_len8_dim1_half_op_CI_CI, .Lfunc_end0-bluestein_single_back_len8_dim1_half_op_CI_CI
                                        ; -- End function
	.section	.AMDGPU.csdata,"",@progbits
; Kernel info:
; codeLenInByte = 2132
; NumSgprs: 20
; NumVgprs: 29
; ScratchSize: 0
; MemoryBound: 0
; FloatMode: 240
; IeeeMode: 1
; LDSByteSize: 512 bytes/workgroup (compile time only)
; SGPRBlocks: 2
; VGPRBlocks: 7
; NumSGPRsForWavesPerEU: 20
; NumVGPRsForWavesPerEU: 29
; Occupancy: 8
; WaveLimiterHint : 1
; COMPUTE_PGM_RSRC2:SCRATCH_EN: 0
; COMPUTE_PGM_RSRC2:USER_SGPR: 6
; COMPUTE_PGM_RSRC2:TRAP_HANDLER: 0
; COMPUTE_PGM_RSRC2:TGID_X_EN: 1
; COMPUTE_PGM_RSRC2:TGID_Y_EN: 0
; COMPUTE_PGM_RSRC2:TGID_Z_EN: 0
; COMPUTE_PGM_RSRC2:TIDIG_COMP_CNT: 0
	.type	__hip_cuid_8e58c2da669bd1c0,@object ; @__hip_cuid_8e58c2da669bd1c0
	.section	.bss,"aw",@nobits
	.globl	__hip_cuid_8e58c2da669bd1c0
__hip_cuid_8e58c2da669bd1c0:
	.byte	0                               ; 0x0
	.size	__hip_cuid_8e58c2da669bd1c0, 1

	.ident	"AMD clang version 19.0.0git (https://github.com/RadeonOpenCompute/llvm-project roc-6.4.0 25133 c7fe45cf4b819c5991fe208aaa96edf142730f1d)"
	.section	".note.GNU-stack","",@progbits
	.addrsig
	.addrsig_sym __hip_cuid_8e58c2da669bd1c0
	.amdgpu_metadata
---
amdhsa.kernels:
  - .args:
      - .actual_access:  read_only
        .address_space:  global
        .offset:         0
        .size:           8
        .value_kind:     global_buffer
      - .actual_access:  read_only
        .address_space:  global
        .offset:         8
        .size:           8
        .value_kind:     global_buffer
      - .actual_access:  read_only
        .address_space:  global
        .offset:         16
        .size:           8
        .value_kind:     global_buffer
      - .actual_access:  read_only
        .address_space:  global
        .offset:         24
        .size:           8
        .value_kind:     global_buffer
      - .actual_access:  read_only
        .address_space:  global
        .offset:         32
        .size:           8
        .value_kind:     global_buffer
      - .offset:         40
        .size:           8
        .value_kind:     by_value
      - .address_space:  global
        .offset:         48
        .size:           8
        .value_kind:     global_buffer
      - .address_space:  global
        .offset:         56
        .size:           8
        .value_kind:     global_buffer
      - .address_space:  global
        .offset:         64
        .size:           8
        .value_kind:     global_buffer
      - .address_space:  global
        .offset:         72
        .size:           8
        .value_kind:     global_buffer
      - .offset:         80
        .size:           4
        .value_kind:     by_value
      - .address_space:  global
        .offset:         88
        .size:           8
        .value_kind:     global_buffer
      - .address_space:  global
        .offset:         96
        .size:           8
        .value_kind:     global_buffer
    .group_segment_fixed_size: 512
    .kernarg_segment_align: 8
    .kernarg_segment_size: 104
    .language:       OpenCL C
    .language_version:
      - 2
      - 0
    .max_flat_workgroup_size: 64
    .name:           bluestein_single_back_len8_dim1_half_op_CI_CI
    .private_segment_fixed_size: 0
    .sgpr_count:     20
    .sgpr_spill_count: 0
    .symbol:         bluestein_single_back_len8_dim1_half_op_CI_CI.kd
    .uniform_work_group_size: 1
    .uses_dynamic_stack: false
    .vgpr_count:     29
    .vgpr_spill_count: 0
    .wavefront_size: 64
amdhsa.target:   amdgcn-amd-amdhsa--gfx906
amdhsa.version:
  - 1
  - 2
...

	.end_amdgpu_metadata
